;; amdgpu-corpus repo=ROCm/rocFFT kind=compiled arch=gfx906 opt=O3
	.text
	.amdgcn_target "amdgcn-amd-amdhsa--gfx906"
	.amdhsa_code_object_version 6
	.protected	fft_rtc_fwd_len693_factors_11_7_9_wgs_99_tpt_99_halfLds_half_ip_CI_sbrr_dirReg ; -- Begin function fft_rtc_fwd_len693_factors_11_7_9_wgs_99_tpt_99_halfLds_half_ip_CI_sbrr_dirReg
	.globl	fft_rtc_fwd_len693_factors_11_7_9_wgs_99_tpt_99_halfLds_half_ip_CI_sbrr_dirReg
	.p2align	8
	.type	fft_rtc_fwd_len693_factors_11_7_9_wgs_99_tpt_99_halfLds_half_ip_CI_sbrr_dirReg,@function
fft_rtc_fwd_len693_factors_11_7_9_wgs_99_tpt_99_halfLds_half_ip_CI_sbrr_dirReg: ; @fft_rtc_fwd_len693_factors_11_7_9_wgs_99_tpt_99_halfLds_half_ip_CI_sbrr_dirReg
; %bb.0:
	s_load_dwordx2 s[2:3], s[4:5], 0x18
	s_load_dwordx4 s[8:11], s[4:5], 0x0
	s_load_dwordx2 s[14:15], s[4:5], 0x50
	v_mul_u32_u24_e32 v1, 0x296, v0
	v_add_u32_sdwa v5, s6, v1 dst_sel:DWORD dst_unused:UNUSED_PAD src0_sel:DWORD src1_sel:WORD_1
	s_waitcnt lgkmcnt(0)
	s_load_dwordx2 s[12:13], s[2:3], 0x0
	v_cmp_lt_u64_e64 s[0:1], s[10:11], 2
	v_mov_b32_e32 v3, 0
	v_mov_b32_e32 v1, 0
	;; [unrolled: 1-line block ×3, first 2 shown]
	s_and_b64 vcc, exec, s[0:1]
	v_mov_b32_e32 v2, 0
	s_cbranch_vccnz .LBB0_8
; %bb.1:
	s_load_dwordx2 s[0:1], s[4:5], 0x10
	s_add_u32 s6, s2, 8
	s_addc_u32 s7, s3, 0
	v_mov_b32_e32 v1, 0
	v_mov_b32_e32 v2, 0
	s_waitcnt lgkmcnt(0)
	s_add_u32 s16, s0, 8
	s_addc_u32 s17, s1, 0
	s_mov_b64 s[18:19], 1
.LBB0_2:                                ; =>This Inner Loop Header: Depth=1
	s_load_dwordx2 s[20:21], s[16:17], 0x0
                                        ; implicit-def: $vgpr7_vgpr8
	s_waitcnt lgkmcnt(0)
	v_or_b32_e32 v4, s21, v6
	v_cmp_ne_u64_e32 vcc, 0, v[3:4]
	s_and_saveexec_b64 s[0:1], vcc
	s_xor_b64 s[22:23], exec, s[0:1]
	s_cbranch_execz .LBB0_4
; %bb.3:                                ;   in Loop: Header=BB0_2 Depth=1
	v_cvt_f32_u32_e32 v4, s20
	v_cvt_f32_u32_e32 v7, s21
	s_sub_u32 s0, 0, s20
	s_subb_u32 s1, 0, s21
	v_mac_f32_e32 v4, 0x4f800000, v7
	v_rcp_f32_e32 v4, v4
	v_mul_f32_e32 v4, 0x5f7ffffc, v4
	v_mul_f32_e32 v7, 0x2f800000, v4
	v_trunc_f32_e32 v7, v7
	v_mac_f32_e32 v4, 0xcf800000, v7
	v_cvt_u32_f32_e32 v7, v7
	v_cvt_u32_f32_e32 v4, v4
	v_mul_lo_u32 v8, s0, v7
	v_mul_hi_u32 v9, s0, v4
	v_mul_lo_u32 v11, s1, v4
	v_mul_lo_u32 v10, s0, v4
	v_add_u32_e32 v8, v9, v8
	v_add_u32_e32 v8, v8, v11
	v_mul_hi_u32 v9, v4, v10
	v_mul_lo_u32 v11, v4, v8
	v_mul_hi_u32 v13, v4, v8
	v_mul_hi_u32 v12, v7, v10
	v_mul_lo_u32 v10, v7, v10
	v_mul_hi_u32 v14, v7, v8
	v_add_co_u32_e32 v9, vcc, v9, v11
	v_addc_co_u32_e32 v11, vcc, 0, v13, vcc
	v_mul_lo_u32 v8, v7, v8
	v_add_co_u32_e32 v9, vcc, v9, v10
	v_addc_co_u32_e32 v9, vcc, v11, v12, vcc
	v_addc_co_u32_e32 v10, vcc, 0, v14, vcc
	v_add_co_u32_e32 v8, vcc, v9, v8
	v_addc_co_u32_e32 v9, vcc, 0, v10, vcc
	v_add_co_u32_e32 v4, vcc, v4, v8
	v_addc_co_u32_e32 v7, vcc, v7, v9, vcc
	v_mul_lo_u32 v8, s0, v7
	v_mul_hi_u32 v9, s0, v4
	v_mul_lo_u32 v10, s1, v4
	v_mul_lo_u32 v11, s0, v4
	v_add_u32_e32 v8, v9, v8
	v_add_u32_e32 v8, v8, v10
	v_mul_lo_u32 v12, v4, v8
	v_mul_hi_u32 v13, v4, v11
	v_mul_hi_u32 v14, v4, v8
	;; [unrolled: 1-line block ×3, first 2 shown]
	v_mul_lo_u32 v11, v7, v11
	v_mul_hi_u32 v9, v7, v8
	v_add_co_u32_e32 v12, vcc, v13, v12
	v_addc_co_u32_e32 v13, vcc, 0, v14, vcc
	v_mul_lo_u32 v8, v7, v8
	v_add_co_u32_e32 v11, vcc, v12, v11
	v_addc_co_u32_e32 v10, vcc, v13, v10, vcc
	v_addc_co_u32_e32 v9, vcc, 0, v9, vcc
	v_add_co_u32_e32 v8, vcc, v10, v8
	v_addc_co_u32_e32 v9, vcc, 0, v9, vcc
	v_add_co_u32_e32 v4, vcc, v4, v8
	v_addc_co_u32_e32 v9, vcc, v7, v9, vcc
	v_mad_u64_u32 v[7:8], s[0:1], v5, v9, 0
	v_mul_hi_u32 v10, v5, v4
	v_add_co_u32_e32 v11, vcc, v10, v7
	v_addc_co_u32_e32 v12, vcc, 0, v8, vcc
	v_mad_u64_u32 v[7:8], s[0:1], v6, v4, 0
	v_mad_u64_u32 v[9:10], s[0:1], v6, v9, 0
	v_add_co_u32_e32 v4, vcc, v11, v7
	v_addc_co_u32_e32 v4, vcc, v12, v8, vcc
	v_addc_co_u32_e32 v7, vcc, 0, v10, vcc
	v_add_co_u32_e32 v4, vcc, v4, v9
	v_addc_co_u32_e32 v9, vcc, 0, v7, vcc
	v_mul_lo_u32 v10, s21, v4
	v_mul_lo_u32 v11, s20, v9
	v_mad_u64_u32 v[7:8], s[0:1], s20, v4, 0
	v_add3_u32 v8, v8, v11, v10
	v_sub_u32_e32 v10, v6, v8
	v_mov_b32_e32 v11, s21
	v_sub_co_u32_e32 v7, vcc, v5, v7
	v_subb_co_u32_e64 v10, s[0:1], v10, v11, vcc
	v_subrev_co_u32_e64 v11, s[0:1], s20, v7
	v_subbrev_co_u32_e64 v10, s[0:1], 0, v10, s[0:1]
	v_cmp_le_u32_e64 s[0:1], s21, v10
	v_cndmask_b32_e64 v12, 0, -1, s[0:1]
	v_cmp_le_u32_e64 s[0:1], s20, v11
	v_cndmask_b32_e64 v11, 0, -1, s[0:1]
	v_cmp_eq_u32_e64 s[0:1], s21, v10
	v_cndmask_b32_e64 v10, v12, v11, s[0:1]
	v_add_co_u32_e64 v11, s[0:1], 2, v4
	v_addc_co_u32_e64 v12, s[0:1], 0, v9, s[0:1]
	v_add_co_u32_e64 v13, s[0:1], 1, v4
	v_addc_co_u32_e64 v14, s[0:1], 0, v9, s[0:1]
	v_subb_co_u32_e32 v8, vcc, v6, v8, vcc
	v_cmp_ne_u32_e64 s[0:1], 0, v10
	v_cmp_le_u32_e32 vcc, s21, v8
	v_cndmask_b32_e64 v10, v14, v12, s[0:1]
	v_cndmask_b32_e64 v12, 0, -1, vcc
	v_cmp_le_u32_e32 vcc, s20, v7
	v_cndmask_b32_e64 v7, 0, -1, vcc
	v_cmp_eq_u32_e32 vcc, s21, v8
	v_cndmask_b32_e32 v7, v12, v7, vcc
	v_cmp_ne_u32_e32 vcc, 0, v7
	v_cndmask_b32_e64 v7, v13, v11, s[0:1]
	v_cndmask_b32_e32 v8, v9, v10, vcc
	v_cndmask_b32_e32 v7, v4, v7, vcc
.LBB0_4:                                ;   in Loop: Header=BB0_2 Depth=1
	s_andn2_saveexec_b64 s[0:1], s[22:23]
	s_cbranch_execz .LBB0_6
; %bb.5:                                ;   in Loop: Header=BB0_2 Depth=1
	v_cvt_f32_u32_e32 v4, s20
	s_sub_i32 s22, 0, s20
	v_rcp_iflag_f32_e32 v4, v4
	v_mul_f32_e32 v4, 0x4f7ffffe, v4
	v_cvt_u32_f32_e32 v4, v4
	v_mul_lo_u32 v7, s22, v4
	v_mul_hi_u32 v7, v4, v7
	v_add_u32_e32 v4, v4, v7
	v_mul_hi_u32 v4, v5, v4
	v_mul_lo_u32 v7, v4, s20
	v_add_u32_e32 v8, 1, v4
	v_sub_u32_e32 v7, v5, v7
	v_subrev_u32_e32 v9, s20, v7
	v_cmp_le_u32_e32 vcc, s20, v7
	v_cndmask_b32_e32 v7, v7, v9, vcc
	v_cndmask_b32_e32 v4, v4, v8, vcc
	v_add_u32_e32 v8, 1, v4
	v_cmp_le_u32_e32 vcc, s20, v7
	v_cndmask_b32_e32 v7, v4, v8, vcc
	v_mov_b32_e32 v8, v3
.LBB0_6:                                ;   in Loop: Header=BB0_2 Depth=1
	s_or_b64 exec, exec, s[0:1]
	v_mul_lo_u32 v4, v8, s20
	v_mul_lo_u32 v11, v7, s21
	v_mad_u64_u32 v[9:10], s[0:1], v7, s20, 0
	s_load_dwordx2 s[0:1], s[6:7], 0x0
	s_add_u32 s18, s18, 1
	v_add3_u32 v4, v10, v11, v4
	v_sub_co_u32_e32 v5, vcc, v5, v9
	v_subb_co_u32_e32 v4, vcc, v6, v4, vcc
	s_waitcnt lgkmcnt(0)
	v_mul_lo_u32 v4, s0, v4
	v_mul_lo_u32 v6, s1, v5
	v_mad_u64_u32 v[1:2], s[0:1], s0, v5, v[1:2]
	s_addc_u32 s19, s19, 0
	s_add_u32 s6, s6, 8
	v_add3_u32 v2, v6, v2, v4
	v_mov_b32_e32 v4, s10
	v_mov_b32_e32 v5, s11
	s_addc_u32 s7, s7, 0
	v_cmp_ge_u64_e32 vcc, s[18:19], v[4:5]
	s_add_u32 s16, s16, 8
	s_addc_u32 s17, s17, 0
	s_cbranch_vccnz .LBB0_9
; %bb.7:                                ;   in Loop: Header=BB0_2 Depth=1
	v_mov_b32_e32 v5, v7
	v_mov_b32_e32 v6, v8
	s_branch .LBB0_2
.LBB0_8:
	v_mov_b32_e32 v8, v6
	v_mov_b32_e32 v7, v5
.LBB0_9:
	s_lshl_b64 s[0:1], s[10:11], 3
	s_add_u32 s0, s2, s0
	s_addc_u32 s1, s3, s1
	s_load_dwordx2 s[2:3], s[0:1], 0x0
	s_load_dwordx2 s[6:7], s[4:5], 0x20
                                        ; implicit-def: $vgpr6
                                        ; implicit-def: $vgpr12
                                        ; implicit-def: $vgpr9
                                        ; implicit-def: $vgpr13
                                        ; implicit-def: $vgpr10
                                        ; implicit-def: $vgpr15
                                        ; implicit-def: $vgpr11
                                        ; implicit-def: $vgpr16
                                        ; implicit-def: $vgpr14
                                        ; implicit-def: $vgpr19
                                        ; implicit-def: $vgpr17
                                        ; implicit-def: $vgpr22
                                        ; implicit-def: $vgpr18
                                        ; implicit-def: $vgpr23
                                        ; implicit-def: $vgpr20
                                        ; implicit-def: $vgpr25
                                        ; implicit-def: $vgpr21
                                        ; implicit-def: $vgpr24
	s_waitcnt lgkmcnt(0)
	v_mad_u64_u32 v[1:2], s[0:1], s2, v7, v[1:2]
	s_mov_b32 s0, 0x295fad5
	v_mul_lo_u32 v3, s2, v8
	v_mul_lo_u32 v4, s3, v7
	v_mul_hi_u32 v5, v0, s0
	v_cmp_gt_u64_e32 vcc, s[6:7], v[7:8]
                                        ; implicit-def: $vgpr7
                                        ; implicit-def: $vgpr8
	v_add3_u32 v2, v4, v2, v3
	v_mul_u32_u24_e32 v3, 0x63, v5
	v_sub_u32_e32 v5, v0, v3
	v_cmp_gt_u32_e64 s[0:1], 63, v5
	v_lshlrev_b64 v[0:1], 2, v[1:2]
	s_and_b64 s[2:3], vcc, s[0:1]
	v_mov_b32_e32 v4, 0
	v_mov_b32_e32 v3, 0
	s_and_saveexec_b64 s[4:5], s[2:3]
	s_cbranch_execz .LBB0_11
; %bb.10:
	v_mad_u64_u32 v[2:3], s[2:3], s12, v5, 0
	v_add_u32_e32 v9, 63, v5
	v_mad_u64_u32 v[6:7], s[2:3], s12, v9, 0
	v_mad_u64_u32 v[3:4], s[2:3], s13, v5, v[3:4]
	v_mov_b32_e32 v8, s15
	v_add_co_u32_e64 v14, s[2:3], s14, v0
	v_mov_b32_e32 v4, v7
	v_addc_co_u32_e64 v35, s[2:3], v8, v1, s[2:3]
	v_mad_u64_u32 v[7:8], s[2:3], s13, v9, v[4:5]
	v_add_u32_e32 v12, 0x7e, v5
	v_mad_u64_u32 v[8:9], s[2:3], s12, v12, 0
	v_lshlrev_b64 v[2:3], 2, v[2:3]
	v_add_co_u32_e64 v10, s[2:3], v14, v2
	v_mov_b32_e32 v4, v9
	v_addc_co_u32_e64 v11, s[2:3], v35, v3, s[2:3]
	v_lshlrev_b64 v[2:3], 2, v[6:7]
	v_mad_u64_u32 v[6:7], s[2:3], s13, v12, v[4:5]
	v_add_u32_e32 v7, 0xbd, v5
	v_mad_u64_u32 v[12:13], s[2:3], s12, v7, 0
	v_add_co_u32_e64 v17, s[2:3], v14, v2
	v_mov_b32_e32 v9, v6
	v_mov_b32_e32 v4, v13
	v_addc_co_u32_e64 v18, s[2:3], v35, v3, s[2:3]
	v_lshlrev_b64 v[2:3], 2, v[8:9]
	v_mad_u64_u32 v[6:7], s[2:3], s13, v7, v[4:5]
	v_add_u32_e32 v9, 0xfc, v5
	v_mad_u64_u32 v[7:8], s[2:3], s12, v9, 0
	v_add_co_u32_e64 v20, s[2:3], v14, v2
	v_mov_b32_e32 v13, v6
	v_add_u32_e32 v6, 0x13b, v5
	v_addc_co_u32_e64 v21, s[2:3], v35, v3, s[2:3]
	v_lshlrev_b64 v[2:3], 2, v[12:13]
	v_mov_b32_e32 v4, v8
	v_mad_u64_u32 v[12:13], s[2:3], s12, v6, 0
	v_mad_u64_u32 v[8:9], s[2:3], s13, v9, v[4:5]
	v_add_co_u32_e64 v23, s[2:3], v14, v2
	v_mov_b32_e32 v4, v13
	v_addc_co_u32_e64 v24, s[2:3], v35, v3, s[2:3]
	v_lshlrev_b64 v[2:3], 2, v[7:8]
	v_mad_u64_u32 v[6:7], s[2:3], s13, v6, v[4:5]
	v_add_u32_e32 v9, 0x17a, v5
	v_mad_u64_u32 v[7:8], s[2:3], s12, v9, 0
	v_add_co_u32_e64 v25, s[2:3], v14, v2
	v_mov_b32_e32 v13, v6
	v_add_u32_e32 v6, 0x1b9, v5
	v_addc_co_u32_e64 v26, s[2:3], v35, v3, s[2:3]
	v_lshlrev_b64 v[2:3], 2, v[12:13]
	v_mov_b32_e32 v4, v8
	v_mad_u64_u32 v[12:13], s[2:3], s12, v6, 0
	v_mad_u64_u32 v[8:9], s[2:3], s13, v9, v[4:5]
	v_add_co_u32_e64 v27, s[2:3], v14, v2
	v_mov_b32_e32 v4, v13
	v_addc_co_u32_e64 v28, s[2:3], v35, v3, s[2:3]
	v_lshlrev_b64 v[2:3], 2, v[7:8]
	v_mad_u64_u32 v[6:7], s[2:3], s13, v6, v[4:5]
	v_add_co_u32_e64 v7, s[2:3], v14, v2
	v_add_u32_e32 v4, 0x1f8, v5
	v_addc_co_u32_e64 v8, s[2:3], v35, v3, s[2:3]
	v_mad_u64_u32 v[29:30], s[2:3], s12, v4, 0
	v_mov_b32_e32 v13, v6
	v_lshlrev_b64 v[2:3], 2, v[12:13]
	v_add_co_u32_e64 v31, s[2:3], v14, v2
	v_mov_b32_e32 v2, v30
	v_addc_co_u32_e64 v32, s[2:3], v35, v3, s[2:3]
	v_mad_u64_u32 v[2:3], s[2:3], s13, v4, v[2:3]
	global_load_dword v3, v[10:11], off
	global_load_dword v6, v[17:18], off
	;; [unrolled: 1-line block ×8, first 2 shown]
	v_add_u32_e32 v4, 0x237, v5
	v_mad_u64_u32 v[33:34], s[2:3], s12, v4, 0
	v_mov_b32_e32 v30, v2
	v_lshlrev_b64 v[7:8], 2, v[29:30]
	v_mov_b32_e32 v2, v34
	s_waitcnt vmcnt(7)
	v_mad_u64_u32 v[9:10], s[2:3], s13, v4, v[2:3]
	v_add_u32_e32 v4, 0x276, v5
	v_mad_u64_u32 v[10:11], s[2:3], s12, v4, 0
	v_add_co_u32_e64 v7, s[2:3], v14, v7
	v_mov_b32_e32 v2, v11
	v_addc_co_u32_e64 v8, s[2:3], v35, v8, s[2:3]
	v_mad_u64_u32 v[20:21], s[2:3], s13, v4, v[2:3]
	v_mov_b32_e32 v34, v9
	v_lshlrev_b64 v[17:18], 2, v[33:34]
	v_mov_b32_e32 v11, v20
	v_add_co_u32_e64 v17, s[2:3], v14, v17
	v_lshlrev_b64 v[9:10], 2, v[10:11]
	v_addc_co_u32_e64 v18, s[2:3], v35, v18, s[2:3]
	v_add_co_u32_e64 v9, s[2:3], v14, v9
	v_addc_co_u32_e64 v10, s[2:3], v35, v10, s[2:3]
	global_load_dword v23, v[7:8], off
	global_load_dword v24, v[17:18], off
	;; [unrolled: 1-line block ×3, first 2 shown]
	v_lshrrev_b32_e32 v4, 16, v3
	s_waitcnt vmcnt(9)
	v_lshrrev_b32_e32 v7, 16, v6
	s_waitcnt vmcnt(8)
	;; [unrolled: 2-line block ×10, first 2 shown]
	v_lshrrev_b32_e32 v20, 16, v25
.LBB0_11:
	s_or_b64 exec, exec, s[4:5]
	v_add_f16_e32 v38, v6, v25
	s_mov_b32 s4, 0xb08eb93d
	v_sub_f16_e32 v27, v7, v20
	v_add_f16_e32 v37, v12, v24
	v_pk_mul_f16 v30, v38, s4 op_sel_hi:[0,1]
	s_mov_b32 s16, 0xbbebba0c
	s_mov_b32 s5, 0xbbadb08e
	v_sub_f16_e32 v28, v8, v21
	v_pk_fma_f16 v2, v27, s16, v30 op_sel_hi:[0,1,1]
	v_pk_mul_f16 v26, v37, s5 op_sel_hi:[0,1]
	s_mov_b32 s17, 0x34823beb
	v_pk_add_f16 v2, v3, v2 op_sel_hi:[0,1]
	v_pk_fma_f16 v29, v28, s17, v26 op_sel_hi:[0,1,1]
	s_mov_b32 s6, 0x36a63abb
	v_add_f16_e32 v39, v13, v23
	v_pk_add_f16 v2, v2, v29
	s_mov_b32 s18, 0x3b47b853
	v_sub_f16_e32 v33, v9, v18
	v_pk_mul_f16 v29, v39, s6 op_sel_hi:[0,1]
	v_pk_fma_f16 v31, v33, s18, v29 op_sel_hi:[0,1,1]
	s_mov_b32 s7, 0x3abbbbad
	v_add_f16_e32 v40, v15, v22
	v_pk_add_f16 v2, v31, v2
	s_mov_b32 s19, 0xb853b482
	v_sub_f16_e32 v34, v10, v17
	v_pk_mul_f16 v31, v40, s7 op_sel_hi:[0,1]
	;; [unrolled: 7-line block ×3, first 2 shown]
	v_pk_fma_f16 v41, v35, s20, v32 op_sel_hi:[0,1,1]
	s_mov_b32 s11, 0x5040100
	v_pk_add_f16 v2, v41, v2
	s_and_saveexec_b64 s[2:3], s[0:1]
	s_cbranch_execz .LBB0_13
; %bb.12:
	v_mul_f16_e32 v42, 0xb482, v27
	s_mov_b32 s21, 0xbbad
	v_fma_f16 v43, v38, s21, v42
	v_mul_f16_e32 v44, 0x3853, v28
	s_movk_i32 s22, 0x3abb
	v_add_f16_e32 v43, v3, v43
	v_fma_f16 v45, v37, s22, v44
	v_add_f16_e32 v43, v43, v45
	v_mul_f16_e32 v45, 0xba0c, v33
	s_mov_b32 s23, 0xb93d
	v_fma_f16 v46, v39, s23, v45
	v_pack_b32_f16 v41, v38, v38
	v_add_f16_e32 v43, v46, v43
	v_mul_f16_e32 v46, 0x3b47, v34
	s_movk_i32 s24, 0x36a6
	v_fma_f16 v38, v38, s21, -v42
	v_fma_f16 v47, v40, s24, v46
	v_fma_f16 v44, v37, s22, -v44
	v_add_f16_e32 v38, v3, v38
	v_add_f16_e32 v43, v47, v43
	v_mul_f16_e32 v47, 0xbbeb, v35
	s_mov_b32 s25, 0xb08e
	v_add_f16_e32 v38, v38, v44
	v_fma_f16 v45, v39, s23, -v45
	v_fma_f16 v48, v36, s25, v47
	v_perm_b32 v42, v3, v3, s11
	v_add_f16_e32 v38, v45, v38
	v_fma_f16 v46, v40, s24, -v46
	v_add_f16_e32 v3, v3, v6
	v_add_f16_e32 v43, v48, v43
	v_pack_b32_f16 v48, v27, v27
	v_pack_b32_f16 v37, v37, v37
	v_add_f16_e32 v38, v46, v38
	v_fma_f16 v46, v36, s25, -v47
	v_pk_mul_f16 v41, v41, s6
	s_mov_b32 s21, 0xbb47b853
	v_add_f16_e32 v3, v3, v12
	v_pack_b32_f16 v44, v28, v28
	v_pack_b32_f16 v39, v39, v39
	v_add_f16_e32 v38, v46, v38
	v_pk_mul_f16 v37, v37, s10
	s_mov_b32 s22, 0xba0cbb47
	v_pk_fma_f16 v46, v48, s21, v41 neg_lo:[1,0,0] neg_hi:[1,0,0]
	v_add_f16_e32 v3, v3, v13
	v_pack_b32_f16 v45, v33, v33
	v_pk_mul_f16 v39, v39, s5
	s_mov_b32 s23, 0x3482bbeb
	v_pk_add_f16 v46, v42, v46
	v_pk_fma_f16 v47, v44, s22, v37 neg_lo:[1,0,0] neg_hi:[1,0,0]
	v_pk_mul_f16 v27, v27, s16 op_sel_hi:[0,1]
	v_add_f16_e32 v3, v3, v15
	v_pack_b32_f16 v40, v40, v40
	v_pk_add_f16 v46, v46, v47
	v_pk_fma_f16 v47, v45, s23, v39 neg_lo:[1,0,0] neg_hi:[1,0,0]
	v_pk_add_f16 v27, v30, v27 neg_lo:[0,1] neg_hi:[0,1]
	v_pk_mul_f16 v28, v28, s17 op_sel_hi:[0,1]
	v_add_f16_e32 v3, v3, v16
	v_pk_add_f16 v46, v47, v46
	v_pack_b32_f16 v47, v34, v34
	v_pk_mul_f16 v40, v40, s4
	s_mov_b32 s24, 0x3bebba0c
	v_pk_mul_f16 v30, v33, s18 op_sel_hi:[0,1]
	v_add_f16_e32 v3, v3, v19
	v_pk_add_f16 v26, v26, v28 neg_lo:[0,1] neg_hi:[0,1]
	v_pk_add_f16 v27, v42, v27
	v_pk_fma_f16 v49, v47, s24, v40 neg_lo:[1,0,0] neg_hi:[1,0,0]
	v_pack_b32_f16 v36, v36, v36
	v_pk_mul_f16 v33, v34, s19 op_sel_hi:[0,1]
	v_add_f16_e32 v3, v3, v22
	v_pk_add_f16 v26, v27, v26
	v_pk_add_f16 v27, v29, v30 neg_lo:[0,1] neg_hi:[0,1]
	v_pk_add_f16 v46, v49, v46
	v_pk_mul_f16 v36, v36, s7
	s_mov_b32 s25, 0x3853b482
	v_pack_b32_f16 v49, v35, v35
	v_pk_mul_f16 v34, v35, s20 op_sel_hi:[0,1]
	v_add_f16_e32 v3, v3, v23
	v_pk_add_f16 v26, v27, v26
	v_pk_add_f16 v27, v31, v33 neg_lo:[0,1] neg_hi:[0,1]
	v_pk_fma_f16 v50, v49, s25, v36 neg_lo:[1,0,0] neg_hi:[1,0,0]
	v_add_f16_e32 v3, v3, v24
	v_pk_add_f16 v26, v27, v26
	v_pk_add_f16 v27, v32, v34 neg_lo:[0,1] neg_hi:[0,1]
	v_pk_add_f16 v46, v50, v46
	v_add_f16_e32 v3, v25, v3
	v_pk_add_f16 v26, v27, v26
	s_mov_b32 s26, 0x7060302
	v_mad_u32_u24 v35, v5, 22, 0
	v_perm_b32 v27, v26, v46, s26
	v_pack_b32_f16 v28, v26, v38
	v_pack_b32_f16 v26, v3, v46
	v_pk_fma_f16 v3, v48, s21, v41
	ds_write_b96 v35, v[26:28]
	ds_write_b16 v35, v43 offset:12
	v_pk_add_f16 v3, v42, v3
	v_pk_fma_f16 v26, v44, s22, v37
	v_pk_add_f16 v3, v3, v26
	v_pk_fma_f16 v26, v45, s23, v39
	;; [unrolled: 2-line block ×4, first 2 shown]
	v_pk_add_f16 v3, v26, v3
	v_alignbit_b32 v3, v3, v3, 16
	ds_write_b64 v35, v[2:3] offset:14
.LBB0_13:
	s_or_b64 exec, exec, s[2:3]
	v_sub_f16_e32 v38, v6, v25
	v_add_f16_e32 v36, v7, v20
	v_sub_f16_e32 v37, v12, v24
	v_pk_mul_f16 v26, v38, s16 op_sel_hi:[0,1]
	v_add_f16_e32 v34, v8, v21
	v_sub_f16_e32 v35, v13, v23
	v_pk_fma_f16 v3, v36, s4, v26 op_sel_hi:[0,1,1] neg_lo:[0,0,1] neg_hi:[0,0,1]
	v_pk_mul_f16 v27, v37, s17 op_sel_hi:[0,1]
	v_add_f16_e32 v32, v9, v18
	v_sub_f16_e32 v33, v15, v22
	v_pk_add_f16 v3, v4, v3 op_sel_hi:[0,1]
	v_pk_fma_f16 v6, v34, s5, v27 op_sel_hi:[0,1,1] neg_lo:[0,0,1] neg_hi:[0,0,1]
	v_pk_mul_f16 v28, v35, s18 op_sel_hi:[0,1]
	v_add_f16_e32 v31, v10, v17
	v_pk_add_f16 v3, v3, v6
	v_pk_fma_f16 v6, v32, s6, v28 op_sel_hi:[0,1,1] neg_lo:[0,0,1] neg_hi:[0,0,1]
	v_pk_mul_f16 v29, v33, s19 op_sel_hi:[0,1]
	v_pk_add_f16 v3, v6, v3
	v_pk_fma_f16 v6, v31, s7, v29 op_sel_hi:[0,1,1] neg_lo:[0,0,1] neg_hi:[0,0,1]
	v_pk_add_f16 v3, v6, v3
	v_lshl_add_u32 v6, v5, 1, 0
	v_sub_f16_e32 v25, v16, v19
	s_waitcnt lgkmcnt(0)
	s_barrier
	ds_read_u16 v12, v6
	ds_read_u16 v23, v6 offset:198
	ds_read_u16 v22, v6 offset:396
	ds_read_u16 v19, v6 offset:594
	ds_read_u16 v16, v6 offset:792
	ds_read_u16 v15, v6 offset:990
	ds_read_u16 v13, v6 offset:1188
	v_add_f16_e32 v24, v11, v14
	v_pk_mul_f16 v30, v25, s20 op_sel_hi:[0,1]
	v_pk_fma_f16 v39, v24, s10, v30 op_sel_hi:[0,1,1] neg_lo:[0,0,1] neg_hi:[0,0,1]
	v_pk_add_f16 v3, v39, v3
	s_waitcnt lgkmcnt(0)
	s_barrier
	s_and_saveexec_b64 s[2:3], s[0:1]
	s_cbranch_execz .LBB0_15
; %bb.14:
	v_add_f16_e32 v7, v4, v7
	v_add_f16_e32 v7, v7, v8
	v_mul_f16_e32 v8, 0xb482, v38
	s_mov_b32 s0, 0xbbad
	v_add_f16_e32 v7, v7, v9
	v_fma_f16 v9, v36, s0, v8
	v_fma_f16 v8, v36, s0, -v8
	v_perm_b32 v41, v4, v4, s11
	v_add_f16_e32 v9, v4, v9
	v_add_f16_e32 v4, v4, v8
	v_mul_f16_e32 v8, 0x3853, v37
	s_movk_i32 s0, 0x3abb
	v_add_f16_e32 v7, v7, v10
	v_fma_f16 v10, v34, s0, v8
	v_fma_f16 v8, v34, s0, -v8
	v_add_f16_e32 v4, v4, v8
	v_mul_f16_e32 v8, 0xba0c, v35
	s_mov_b32 s0, 0xb93d
	v_add_f16_e32 v9, v9, v10
	v_fma_f16 v10, v32, s0, v8
	v_fma_f16 v8, v32, s0, -v8
	v_add_f16_e32 v4, v8, v4
	v_mul_f16_e32 v8, 0x3b47, v33
	s_movk_i32 s0, 0x36a6
	v_pack_b32_f16 v40, v38, v38
	v_add_f16_e32 v9, v10, v9
	v_fma_f16 v10, v31, s0, v8
	v_fma_f16 v8, v31, s0, -v8
	s_mov_b32 s1, 0xbb47b853
	v_pack_b32_f16 v39, v36, v36
	v_pack_b32_f16 v43, v37, v37
	v_pk_mul_f16 v50, v36, s4 op_sel_hi:[0,1]
	v_add_f16_e32 v4, v8, v4
	s_mov_b32 s0, 0x36a63abb
	v_pk_mul_f16 v8, v40, s1
	s_mov_b32 s4, 0xba0cbb47
	v_pack_b32_f16 v42, v34, v34
	v_add_f16_e32 v7, v7, v11
	v_add_f16_e32 v9, v10, v9
	v_pk_fma_f16 v10, v39, s0, v8
	s_mov_b32 s1, 0xb93d36a6
	v_pk_mul_f16 v11, v43, s4
	v_pack_b32_f16 v45, v35, v35
	v_pk_mul_f16 v51, v34, s5 op_sel_hi:[0,1]
	v_add_f16_e32 v7, v7, v14
	v_pk_add_f16 v10, v41, v10
	v_pk_fma_f16 v14, v42, s1, v11
	s_mov_b32 s5, 0x3482bbeb
	v_pack_b32_f16 v44, v32, v32
	v_pk_add_f16 v10, v10, v14
	s_mov_b32 s4, 0xbbadb08e
	v_pk_mul_f16 v14, v45, s5
	v_pack_b32_f16 v47, v33, v33
	v_pk_mul_f16 v52, v32, s6 op_sel_hi:[0,1]
	v_add_f16_e32 v7, v7, v17
	v_pk_fma_f16 v17, v44, s4, v14
	s_mov_b32 s6, 0x3bebba0c
	v_pk_fma_f16 v8, v39, s0, v8 neg_lo:[0,0,1] neg_hi:[0,0,1]
	v_pack_b32_f16 v46, v31, v31
	v_pk_add_f16 v10, v17, v10
	s_mov_b32 s5, 0xb08eb93d
	v_pk_mul_f16 v17, v47, s6
	v_pk_add_f16 v8, v41, v8
	v_pk_fma_f16 v11, v42, s1, v11 neg_lo:[0,0,1] neg_hi:[0,0,1]
	v_pack_b32_f16 v49, v25, v25
	v_pk_mul_f16 v53, v31, s7 op_sel_hi:[0,1]
	v_add_f16_e32 v7, v7, v18
	v_pk_fma_f16 v18, v46, s5, v17
	s_mov_b32 s7, 0x3853b482
	v_pk_add_f16 v8, v8, v11
	v_pk_fma_f16 v11, v44, s4, v14 neg_lo:[0,0,1] neg_hi:[0,0,1]
	v_pack_b32_f16 v48, v24, v24
	v_pk_add_f16 v10, v18, v10
	s_mov_b32 s6, 0x3abbbbad
	v_pk_mul_f16 v18, v49, s7
	v_pk_add_f16 v8, v11, v8
	v_pk_fma_f16 v11, v46, s5, v17 neg_lo:[0,0,1] neg_hi:[0,0,1]
	v_pk_add_f16 v8, v11, v8
	v_pk_fma_f16 v11, v48, s6, v18 neg_lo:[0,0,1] neg_hi:[0,0,1]
	v_pk_add_f16 v11, v11, v8
	v_pk_add_f16 v8, v50, v26
	;; [unrolled: 1-line block ×6, first 2 shown]
	v_pk_mul_f16 v54, v24, s10 op_sel_hi:[0,1]
	v_pk_add_f16 v8, v14, v8
	v_pk_add_f16 v14, v53, v29
	;; [unrolled: 1-line block ×4, first 2 shown]
	v_add_f16_e32 v7, v7, v21
	v_pk_add_f16 v14, v14, v8
	v_mul_f16_e32 v8, 0xbbeb, v25
	s_mov_b32 s0, 0xb08e
	v_add_f16_e32 v7, v20, v7
	v_pk_fma_f16 v20, v48, s6, v18
	v_fma_f16 v17, v24, s0, v8
	v_pk_add_f16 v10, v20, v10
	v_add_f16_e32 v9, v17, v9
	v_fma_f16 v8, v24, s0, -v8
	s_mov_b32 s0, 0x7060302
	v_add_f16_e32 v4, v8, v4
	v_mad_u32_u24 v17, v5, 20, v6
	v_perm_b32 v8, v14, v10, s0
	v_pack_b32_f16 v9, v14, v9
	v_pack_b32_f16 v7, v7, v10
	ds_write_b96 v17, v[7:9]
	ds_write_b16 v17, v4 offset:12
	v_alignbit_b32 v4, v11, v11, 16
	ds_write_b64 v17, v[3:4] offset:14
.LBB0_15:
	s_or_b64 exec, exec, s[2:3]
	s_movk_i32 s0, 0x75
	v_mul_lo_u16_sdwa v4, v5, s0 dst_sel:DWORD dst_unused:UNUSED_PAD src0_sel:BYTE_0 src1_sel:DWORD
	v_sub_u16_sdwa v7, v5, v4 dst_sel:DWORD dst_unused:UNUSED_PAD src0_sel:DWORD src1_sel:BYTE_1
	v_lshrrev_b16_e32 v7, 1, v7
	v_and_b32_e32 v7, 0x7f, v7
	v_add_u16_sdwa v4, v7, v4 dst_sel:DWORD dst_unused:UNUSED_PAD src0_sel:DWORD src1_sel:BYTE_1
	v_lshrrev_b16_e32 v4, 3, v4
	v_mul_lo_u16_e32 v7, 11, v4
	v_sub_u16_e32 v27, v5, v7
	v_mov_b32_e32 v7, 6
	v_mul_u32_u24_sdwa v7, v27, v7 dst_sel:DWORD dst_unused:UNUSED_PAD src0_sel:BYTE_0 src1_sel:DWORD
	v_lshlrev_b32_e32 v7, 2, v7
	s_waitcnt lgkmcnt(0)
	s_barrier
	global_load_dwordx4 v[8:11], v7, s[8:9]
	global_load_dwordx2 v[25:26], v7, s[8:9] offset:16
	ds_read_u16 v7, v6
	ds_read_u16 v17, v6 offset:198
	ds_read_u16 v18, v6 offset:396
	;; [unrolled: 1-line block ×6, first 2 shown]
	v_mul_u32_u24_e32 v31, 0x9a, v4
	s_movk_i32 s5, 0x2b26
	s_mov_b32 s6, 0xbcab
	s_movk_i32 s7, 0x39e0
	s_mov_b32 s10, 0xb9e0
	;; [unrolled: 2-line block ×3, first 2 shown]
	s_movk_i32 s16, 0x370e
	s_movk_i32 s4, 0x3b00
	;; [unrolled: 1-line block ×3, first 2 shown]
	v_cmp_gt_u32_e64 s[0:1], s0, v5
	s_waitcnt vmcnt(0) lgkmcnt(0)
	s_barrier
	v_mul_f16_sdwa v4, v17, v8 dst_sel:DWORD dst_unused:UNUSED_PAD src0_sel:DWORD src1_sel:WORD_1
	v_mul_f16_sdwa v20, v23, v8 dst_sel:DWORD dst_unused:UNUSED_PAD src0_sel:DWORD src1_sel:WORD_1
	;; [unrolled: 1-line block ×12, first 2 shown]
	v_fma_f16 v14, v23, v8, -v4
	v_fma_f16 v20, v17, v8, v20
	v_fma_f16 v17, v22, v9, -v21
	v_fma_f16 v21, v18, v9, v32
	;; [unrolled: 2-line block ×4, first 2 shown]
	v_fma_f16 v25, v13, v26, -v39
	v_fma_f16 v16, v16, v11, -v35
	v_fma_f16 v22, v28, v11, v36
	v_fma_f16 v26, v30, v26, v40
	v_add_f16_e32 v4, v14, v25
	v_add_f16_e32 v9, v17, v15
	v_sub_f16_e32 v8, v20, v26
	v_sub_f16_e32 v10, v21, v24
	v_add_f16_e32 v11, v18, v16
	v_sub_f16_e32 v13, v22, v19
	v_add_f16_e32 v23, v9, v4
	v_sub_f16_e32 v28, v9, v4
	v_sub_f16_e32 v4, v4, v11
	;; [unrolled: 1-line block ×3, first 2 shown]
	v_add_f16_e32 v29, v13, v10
	v_sub_f16_e32 v30, v13, v10
	v_sub_f16_e32 v10, v10, v8
	v_add_f16_e32 v11, v11, v23
	v_sub_f16_e32 v13, v8, v13
	v_add_f16_e32 v8, v29, v8
	v_mul_f16_e32 v23, 0x3a52, v4
	v_mul_f16_e32 v29, 0x2b26, v9
	;; [unrolled: 1-line block ×4, first 2 shown]
	v_add_f16_e32 v4, v12, v11
	v_fma_f16 v9, v9, s5, v23
	v_fma_f16 v12, v28, s7, -v29
	v_fma_f16 v23, v28, s10, -v23
	v_fma_f16 v28, v13, s11, v30
	v_fma_f16 v13, v13, s17, -v32
	v_fma_f16 v11, v11, s6, v4
	v_fma_f16 v13, v8, s16, v13
	v_add_f16_e32 v23, v23, v11
	v_fma_f16 v10, v10, s4, -v30
	v_add_f16_e32 v30, v9, v11
	v_add_f16_e32 v9, v13, v23
	v_sub_f16_e32 v13, v23, v13
	v_mov_b32_e32 v23, 1
	v_fma_f16 v28, v8, s16, v28
	v_fma_f16 v29, v8, s16, v10
	v_add_f16_e32 v12, v12, v11
	v_lshlrev_b32_sdwa v23, v23, v27 dst_sel:DWORD dst_unused:UNUSED_PAD src0_sel:DWORD src1_sel:BYTE_0
	v_add_f16_e32 v8, v28, v30
	v_sub_f16_e32 v10, v12, v29
	v_add_f16_e32 v11, v29, v12
	v_sub_f16_e32 v12, v30, v28
	v_add3_u32 v23, 0, v31, v23
	ds_write_b16 v23, v4
	ds_write_b16 v23, v8 offset:22
	ds_write_b16 v23, v9 offset:44
	;; [unrolled: 1-line block ×6, first 2 shown]
	s_waitcnt lgkmcnt(0)
	s_barrier
	s_and_saveexec_b64 s[2:3], s[0:1]
	s_cbranch_execz .LBB0_17
; %bb.16:
	ds_read_u16 v2, v6 offset:1078
	ds_read_u16 v27, v6 offset:1232
	ds_read_u16 v4, v6
	ds_read_u16 v8, v6 offset:154
	ds_read_u16 v9, v6 offset:308
	;; [unrolled: 1-line block ×6, first 2 shown]
	s_mov_b32 s18, 0x5040100
	s_waitcnt lgkmcnt(7)
	v_perm_b32 v2, v27, v2, s18
.LBB0_17:
	s_or_b64 exec, exec, s[2:3]
	v_add_f16_e32 v20, v20, v26
	v_add_f16_e32 v21, v21, v24
	v_sub_f16_e32 v14, v14, v25
	v_sub_f16_e32 v15, v17, v15
	v_add_f16_e32 v17, v19, v22
	v_sub_f16_e32 v16, v16, v18
	v_add_f16_e32 v18, v21, v20
	v_sub_f16_e32 v19, v21, v20
	v_sub_f16_e32 v20, v20, v17
	;; [unrolled: 1-line block ×3, first 2 shown]
	v_add_f16_e32 v22, v16, v15
	v_sub_f16_e32 v24, v16, v15
	v_sub_f16_e32 v15, v15, v14
	v_add_f16_e32 v17, v17, v18
	v_sub_f16_e32 v16, v14, v16
	v_add_f16_e32 v14, v22, v14
	v_add_f16_e32 v7, v7, v17
	v_mul_f16_e32 v18, 0x3a52, v20
	v_mul_f16_e32 v20, 0x2b26, v21
	;; [unrolled: 1-line block ×4, first 2 shown]
	v_fma_f16 v17, v17, s6, v7
	v_fma_f16 v21, v21, s5, v18
	v_fma_f16 v20, v19, s7, -v20
	v_fma_f16 v18, v19, s10, -v18
	v_fma_f16 v19, v16, s11, v22
	v_fma_f16 v15, v15, s4, -v22
	v_fma_f16 v16, v16, s17, -v24
	v_add_f16_e32 v21, v21, v17
	v_add_f16_e32 v20, v20, v17
	;; [unrolled: 1-line block ×3, first 2 shown]
	v_fma_f16 v22, v14, s16, v19
	v_fma_f16 v17, v14, s16, v15
	;; [unrolled: 1-line block ×3, first 2 shown]
	v_sub_f16_e32 v14, v21, v22
	v_sub_f16_e32 v16, v18, v19
	v_add_f16_e32 v15, v17, v20
	v_sub_f16_e32 v17, v20, v17
	v_add_f16_e32 v19, v19, v18
	v_add_f16_e32 v18, v22, v21
	s_waitcnt lgkmcnt(0)
	s_barrier
	ds_write_b16 v23, v7
	ds_write_b16 v23, v14 offset:22
	ds_write_b16 v23, v16 offset:44
	;; [unrolled: 1-line block ×6, first 2 shown]
	s_waitcnt lgkmcnt(0)
	s_barrier
	s_and_saveexec_b64 s[2:3], s[0:1]
	s_cbranch_execnz .LBB0_20
; %bb.18:
	s_or_b64 exec, exec, s[2:3]
	s_and_b64 s[0:1], vcc, s[0:1]
	s_and_saveexec_b64 s[2:3], s[0:1]
	s_cbranch_execnz .LBB0_21
.LBB0_19:
	s_endpgm
.LBB0_20:
	ds_read_u16 v3, v6 offset:1078
	ds_read_u16 v20, v6 offset:1232
	ds_read_u16 v7, v6
	ds_read_u16 v14, v6 offset:154
	ds_read_u16 v16, v6 offset:308
	;; [unrolled: 1-line block ×6, first 2 shown]
	s_mov_b32 s4, 0x5040100
	s_waitcnt lgkmcnt(7)
	v_perm_b32 v3, v20, v3, s4
	s_or_b64 exec, exec, s[2:3]
	s_and_b64 s[0:1], vcc, s[0:1]
	s_and_saveexec_b64 s[2:3], s[0:1]
	s_cbranch_execz .LBB0_19
.LBB0_21:
	v_lshlrev_b32_e32 v20, 3, v5
	v_mov_b32_e32 v21, 0
	v_lshlrev_b64 v[20:21], 2, v[20:21]
	v_mov_b32_e32 v6, s9
	v_add_co_u32_e32 v28, vcc, s8, v20
	v_addc_co_u32_e32 v29, vcc, v6, v21, vcc
	global_load_dwordx4 v[20:23], v[28:29], off offset:264
	global_load_dwordx4 v[24:27], v[28:29], off offset:280
	v_lshrrev_b32_e32 v6, 16, v2
	s_movk_i32 s2, 0x3aee
	s_mov_b32 s1, 0xb924
	s_movk_i32 s0, 0x3be1
	s_movk_i32 s3, 0x3579
	;; [unrolled: 1-line block ×4, first 2 shown]
	s_mov_b32 s6, 0xbb84
	s_waitcnt vmcnt(1)
	v_lshrrev_b32_e32 v28, 16, v20
	v_lshrrev_b32_e32 v29, 16, v21
	;; [unrolled: 1-line block ×3, first 2 shown]
	s_waitcnt vmcnt(0)
	v_lshrrev_b32_e32 v35, 16, v26
	v_lshrrev_b32_e32 v36, 16, v27
	s_waitcnt lgkmcnt(2)
	v_mul_f16_e32 v42, v17, v23
	v_lshrrev_b32_e32 v30, 16, v22
	v_mul_f16_e32 v32, v14, v20
	v_lshrrev_b32_e32 v33, 16, v24
	v_lshrrev_b32_e32 v34, 16, v25
	v_mul_f16_sdwa v37, v3, v27 dst_sel:DWORD dst_unused:UNUSED_PAD src0_sel:WORD_1 src1_sel:DWORD
	v_mul_f16_e32 v40, v16, v21
	v_mul_f16_e32 v41, v3, v26
	v_fma_f16 v42, v11, v31, v42
	v_mul_f16_e32 v17, v17, v31
	v_mul_f16_e32 v31, v3, v35
	;; [unrolled: 1-line block ×3, first 2 shown]
	v_mul_f16_sdwa v3, v3, v36 dst_sel:DWORD dst_unused:UNUSED_PAD src0_sel:WORD_1 src1_sel:DWORD
	v_mul_f16_e32 v14, v14, v28
	v_mul_f16_e32 v38, v15, v22
	s_waitcnt lgkmcnt(0)
	v_mul_f16_e32 v39, v18, v25
	v_mul_f16_e32 v43, v19, v24
	v_fma_f16 v37, v6, v36, v37
	v_fma_f16 v40, v9, v29, v40
	v_fma_f16 v41, v2, v35, v41
	v_mul_f16_e32 v19, v19, v33
	v_mul_f16_e32 v18, v18, v34
	;; [unrolled: 1-line block ×3, first 2 shown]
	v_fma_f16 v2, v2, v26, -v31
	v_fma_f16 v9, v9, v21, -v16
	;; [unrolled: 1-line block ×4, first 2 shown]
	v_fma_f16 v38, v10, v30, v38
	v_fma_f16 v39, v12, v34, v39
	;; [unrolled: 1-line block ×3, first 2 shown]
	v_fma_f16 v13, v13, v24, -v19
	v_fma_f16 v12, v12, v25, -v18
	;; [unrolled: 1-line block ×3, first 2 shown]
	v_add_f16_e32 v19, v9, v2
	v_add_f16_e32 v21, v6, v3
	;; [unrolled: 1-line block ×4, first 2 shown]
	v_fma_f16 v32, v8, v28, v32
	v_fma_f16 v11, v11, v23, -v17
	v_add_f16_e32 v26, v20, v25
	v_sub_f16_e32 v28, v32, v37
	v_sub_f16_e32 v33, v42, v43
	v_add_f16_e32 v18, v11, v13
	v_sub_f16_e32 v2, v9, v2
	v_sub_f16_e32 v9, v11, v13
	v_add_f16_e32 v11, v11, v26
	v_sub_f16_e32 v30, v40, v41
	v_add_f16_e32 v11, v13, v11
	v_add_f16_e32 v13, v28, v33
	;; [unrolled: 1-line block ×6, first 2 shown]
	v_sub_f16_e32 v13, v13, v30
	v_fma_f16 v25, v25, -0.5, v27
	v_add_f16_e32 v8, v42, v43
	v_add_f16_e32 v15, v38, v39
	;; [unrolled: 1-line block ×3, first 2 shown]
	v_mul_f16_e32 v26, 0x3aee, v13
	v_fma_f16 v13, v13, s2, v25
	v_sub_f16_e32 v3, v6, v3
	v_add_f16_e32 v24, v15, v23
	v_fma_f16 v25, v26, -2.0, v13
	v_add_f16_e32 v26, v7, v15
	v_add_f16_e32 v23, v23, v8
	v_mul_f16_e32 v17, 0x3be1, v33
	v_mul_f16_e32 v22, 0x3be1, v9
	v_fma_f16 v23, v23, -0.5, v26
	v_add_f16_e32 v26, v3, v9
	v_sub_f16_e32 v6, v10, v12
	v_fma_f16 v12, v30, s1, -v17
	v_fma_f16 v22, v2, s1, -v22
	v_sub_f16_e32 v26, v26, v2
	s_mov_b32 s1, 0xbaee
	v_mul_f16_e32 v27, 0x3aee, v26
	v_fma_f16 v23, v26, s1, v23
	v_mul_f16_e32 v34, 0xb924, v9
	v_fma_f16 v26, v27, 2.0, v23
	v_mul_f16_e32 v27, 0xb924, v33
	v_fma_f16 v34, v3, s0, v34
	v_sub_f16_e32 v29, v38, v39
	v_fma_f16 v27, v28, s0, v27
	v_fma_f16 v34, v6, s1, v34
	;; [unrolled: 1-line block ×4, first 2 shown]
	s_movk_i32 s0, 0x3924
	v_mul_f16_e32 v2, 0x3be1, v2
	v_fma_f16 v17, v19, s4, v4
	v_fma_f16 v12, v29, s2, v12
	v_add_f16_e32 v11, v4, v11
	v_fma_f16 v27, v30, s3, v27
	v_fma_f16 v31, v18, s4, v4
	v_mul_f16_e32 v30, 0x3be1, v30
	v_fma_f16 v4, v21, s4, v4
	v_fma_f16 v2, v3, s0, v2
	;; [unrolled: 1-line block ×9, first 2 shown]
	v_fma_f16 v4, v20, -0.5, v4
	v_fma_f16 v6, v9, s3, v2
	v_mad_u64_u32 v[2:3], s[0:1], s12, v5, 0
	v_fma_f16 v28, v33, s3, v28
	v_fma_f16 v4, v18, s6, v4
	;; [unrolled: 1-line block ×3, first 2 shown]
	v_add_f16_e32 v24, v42, v24
	v_add_f16_e32 v18, v28, v4
	v_fma_f16 v4, v16, s4, v7
	v_add_f16_e32 v24, v43, v24
	v_fma_f16 v32, v8, s4, v7
	v_fma_f16 v4, v14, s5, v4
	;; [unrolled: 1-line block ×3, first 2 shown]
	v_add_f16_e32 v24, v7, v24
	v_fma_f16 v32, v16, s5, v32
	v_fma_f16 v7, v15, -0.5, v4
	v_mad_u64_u32 v[3:4], s[0:1], s13, v5, v[3:4]
	v_fma_f16 v32, v15, -0.5, v32
	v_fma_f16 v4, v8, s6, v7
	v_fma_f16 v10, v8, s5, v10
	;; [unrolled: 1-line block ×3, first 2 shown]
	v_sub_f16_e32 v8, v4, v6
	v_mov_b32_e32 v4, s15
	v_add_co_u32_e32 v14, vcc, s14, v0
	v_fma_f16 v10, v15, -0.5, v10
	v_addc_co_u32_e32 v15, vcc, v4, v1, vcc
	v_add_u32_e32 v4, 0x4d, v5
	v_lshlrev_b64 v[0:1], 2, v[2:3]
	v_mad_u64_u32 v[2:3], s[0:1], s12, v4, 0
	v_fma_f16 v9, v6, 2.0, v8
	v_add_co_u32_e32 v0, vcc, v14, v0
	v_mad_u64_u32 v[3:4], s[0:1], s13, v4, v[3:4]
	v_add_u32_e32 v4, 0x9a, v5
	v_mad_u64_u32 v[6:7], s[0:1], s12, v4, 0
	v_addc_co_u32_e32 v1, vcc, v15, v1, vcc
	v_pack_b32_f16 v11, v11, v24
	global_store_dword v[0:1], v11, off
	v_lshlrev_b64 v[0:1], 2, v[2:3]
	v_mov_b32_e32 v2, v7
	v_mad_u64_u32 v[2:3], s[0:1], s13, v4, v[2:3]
	v_add_co_u32_e32 v0, vcc, v14, v0
	v_addc_co_u32_e32 v1, vcc, v15, v1, vcc
	v_pack_b32_f16 v3, v18, v8
	v_add_u32_e32 v4, 0xe7, v5
	global_store_dword v[0:1], v3, off
	v_mov_b32_e32 v7, v2
	v_mad_u64_u32 v[2:3], s[0:1], s12, v4, 0
	v_fma_f16 v31, v21, s5, v31
	v_fma_f16 v31, v20, -0.5, v31
	v_mad_u64_u32 v[3:4], s[0:1], s13, v4, v[3:4]
	v_add_u32_e32 v4, 0x134, v5
	v_lshlrev_b64 v[0:1], 2, v[6:7]
	v_mad_u64_u32 v[6:7], s[0:1], s12, v4, 0
	v_fma_f16 v31, v19, s6, v31
	v_add_f16_e32 v31, v27, v31
	v_sub_f16_e32 v32, v32, v34
	v_add_co_u32_e32 v0, vcc, v14, v0
	v_addc_co_u32_e32 v1, vcc, v15, v1, vcc
	v_pack_b32_f16 v8, v31, v32
	global_store_dword v[0:1], v8, off
	v_lshlrev_b64 v[0:1], 2, v[2:3]
	v_mov_b32_e32 v2, v7
	v_mad_u64_u32 v[2:3], s[0:1], s13, v4, v[2:3]
	v_add_co_u32_e32 v0, vcc, v14, v0
	v_addc_co_u32_e32 v1, vcc, v15, v1, vcc
	v_pack_b32_f16 v3, v13, v23
	v_add_u32_e32 v4, 0x181, v5
	global_store_dword v[0:1], v3, off
	v_mov_b32_e32 v7, v2
	v_mad_u64_u32 v[2:3], s[0:1], s12, v4, 0
	v_fma_f16 v17, v20, -0.5, v17
	v_lshlrev_b64 v[0:1], 2, v[6:7]
	v_mad_u64_u32 v[3:4], s[0:1], s13, v4, v[3:4]
	v_add_u32_e32 v4, 0x1ce, v5
	v_mad_u64_u32 v[6:7], s[0:1], s12, v4, 0
	v_fma_f16 v10, v16, s6, v10
	v_fma_f16 v17, v21, s6, v17
	v_add_f16_e32 v17, v12, v17
	v_sub_f16_e32 v10, v10, v22
	v_add_co_u32_e32 v0, vcc, v14, v0
	v_addc_co_u32_e32 v1, vcc, v15, v1, vcc
	v_pack_b32_f16 v8, v17, v10
	global_store_dword v[0:1], v8, off
	v_lshlrev_b64 v[0:1], 2, v[2:3]
	v_mov_b32_e32 v2, v7
	v_mad_u64_u32 v[2:3], s[0:1], s13, v4, v[2:3]
	v_fma_f16 v12, v12, -2.0, v17
	v_fma_f16 v22, v22, 2.0, v10
	v_add_co_u32_e32 v0, vcc, v14, v0
	v_addc_co_u32_e32 v1, vcc, v15, v1, vcc
	v_pack_b32_f16 v3, v12, v22
	v_add_u32_e32 v4, 0x21b, v5
	global_store_dword v[0:1], v3, off
	v_mov_b32_e32 v7, v2
	v_mad_u64_u32 v[2:3], s[0:1], s12, v4, 0
	v_lshlrev_b64 v[0:1], 2, v[6:7]
	v_add_u32_e32 v7, 0x268, v5
	v_mad_u64_u32 v[3:4], s[0:1], s13, v4, v[3:4]
	v_mad_u64_u32 v[4:5], s[0:1], s12, v7, 0
	v_add_co_u32_e32 v0, vcc, v14, v0
	v_addc_co_u32_e32 v1, vcc, v15, v1, vcc
	v_pack_b32_f16 v6, v25, v26
	global_store_dword v[0:1], v6, off
	v_lshlrev_b64 v[0:1], 2, v[2:3]
	v_mov_b32_e32 v2, v5
	v_mad_u64_u32 v[2:3], s[0:1], s13, v7, v[2:3]
	v_fma_f16 v27, v27, -2.0, v31
	v_fma_f16 v34, v34, 2.0, v32
	v_add_co_u32_e32 v0, vcc, v14, v0
	v_addc_co_u32_e32 v1, vcc, v15, v1, vcc
	v_pack_b32_f16 v3, v27, v34
	v_mov_b32_e32 v5, v2
	global_store_dword v[0:1], v3, off
	v_lshlrev_b64 v[0:1], 2, v[4:5]
	v_fma_f16 v19, v28, -2.0, v18
	v_add_co_u32_e32 v0, vcc, v14, v0
	v_addc_co_u32_e32 v1, vcc, v15, v1, vcc
	v_pack_b32_f16 v2, v19, v9
	global_store_dword v[0:1], v2, off
	s_endpgm
	.section	.rodata,"a",@progbits
	.p2align	6, 0x0
	.amdhsa_kernel fft_rtc_fwd_len693_factors_11_7_9_wgs_99_tpt_99_halfLds_half_ip_CI_sbrr_dirReg
		.amdhsa_group_segment_fixed_size 0
		.amdhsa_private_segment_fixed_size 0
		.amdhsa_kernarg_size 88
		.amdhsa_user_sgpr_count 6
		.amdhsa_user_sgpr_private_segment_buffer 1
		.amdhsa_user_sgpr_dispatch_ptr 0
		.amdhsa_user_sgpr_queue_ptr 0
		.amdhsa_user_sgpr_kernarg_segment_ptr 1
		.amdhsa_user_sgpr_dispatch_id 0
		.amdhsa_user_sgpr_flat_scratch_init 0
		.amdhsa_user_sgpr_private_segment_size 0
		.amdhsa_uses_dynamic_stack 0
		.amdhsa_system_sgpr_private_segment_wavefront_offset 0
		.amdhsa_system_sgpr_workgroup_id_x 1
		.amdhsa_system_sgpr_workgroup_id_y 0
		.amdhsa_system_sgpr_workgroup_id_z 0
		.amdhsa_system_sgpr_workgroup_info 0
		.amdhsa_system_vgpr_workitem_id 0
		.amdhsa_next_free_vgpr 55
		.amdhsa_next_free_sgpr 27
		.amdhsa_reserve_vcc 1
		.amdhsa_reserve_flat_scratch 0
		.amdhsa_float_round_mode_32 0
		.amdhsa_float_round_mode_16_64 0
		.amdhsa_float_denorm_mode_32 3
		.amdhsa_float_denorm_mode_16_64 3
		.amdhsa_dx10_clamp 1
		.amdhsa_ieee_mode 1
		.amdhsa_fp16_overflow 0
		.amdhsa_exception_fp_ieee_invalid_op 0
		.amdhsa_exception_fp_denorm_src 0
		.amdhsa_exception_fp_ieee_div_zero 0
		.amdhsa_exception_fp_ieee_overflow 0
		.amdhsa_exception_fp_ieee_underflow 0
		.amdhsa_exception_fp_ieee_inexact 0
		.amdhsa_exception_int_div_zero 0
	.end_amdhsa_kernel
	.text
.Lfunc_end0:
	.size	fft_rtc_fwd_len693_factors_11_7_9_wgs_99_tpt_99_halfLds_half_ip_CI_sbrr_dirReg, .Lfunc_end0-fft_rtc_fwd_len693_factors_11_7_9_wgs_99_tpt_99_halfLds_half_ip_CI_sbrr_dirReg
                                        ; -- End function
	.section	.AMDGPU.csdata,"",@progbits
; Kernel info:
; codeLenInByte = 6776
; NumSgprs: 31
; NumVgprs: 55
; ScratchSize: 0
; MemoryBound: 0
; FloatMode: 240
; IeeeMode: 1
; LDSByteSize: 0 bytes/workgroup (compile time only)
; SGPRBlocks: 3
; VGPRBlocks: 13
; NumSGPRsForWavesPerEU: 31
; NumVGPRsForWavesPerEU: 55
; Occupancy: 4
; WaveLimiterHint : 1
; COMPUTE_PGM_RSRC2:SCRATCH_EN: 0
; COMPUTE_PGM_RSRC2:USER_SGPR: 6
; COMPUTE_PGM_RSRC2:TRAP_HANDLER: 0
; COMPUTE_PGM_RSRC2:TGID_X_EN: 1
; COMPUTE_PGM_RSRC2:TGID_Y_EN: 0
; COMPUTE_PGM_RSRC2:TGID_Z_EN: 0
; COMPUTE_PGM_RSRC2:TIDIG_COMP_CNT: 0
	.type	__hip_cuid_46c0048a9b8dd44f,@object ; @__hip_cuid_46c0048a9b8dd44f
	.section	.bss,"aw",@nobits
	.globl	__hip_cuid_46c0048a9b8dd44f
__hip_cuid_46c0048a9b8dd44f:
	.byte	0                               ; 0x0
	.size	__hip_cuid_46c0048a9b8dd44f, 1

	.ident	"AMD clang version 19.0.0git (https://github.com/RadeonOpenCompute/llvm-project roc-6.4.0 25133 c7fe45cf4b819c5991fe208aaa96edf142730f1d)"
	.section	".note.GNU-stack","",@progbits
	.addrsig
	.addrsig_sym __hip_cuid_46c0048a9b8dd44f
	.amdgpu_metadata
---
amdhsa.kernels:
  - .args:
      - .actual_access:  read_only
        .address_space:  global
        .offset:         0
        .size:           8
        .value_kind:     global_buffer
      - .offset:         8
        .size:           8
        .value_kind:     by_value
      - .actual_access:  read_only
        .address_space:  global
        .offset:         16
        .size:           8
        .value_kind:     global_buffer
      - .actual_access:  read_only
        .address_space:  global
        .offset:         24
        .size:           8
        .value_kind:     global_buffer
      - .offset:         32
        .size:           8
        .value_kind:     by_value
      - .actual_access:  read_only
        .address_space:  global
        .offset:         40
        .size:           8
        .value_kind:     global_buffer
      - .actual_access:  read_only
        .address_space:  global
        .offset:         48
        .size:           8
        .value_kind:     global_buffer
      - .offset:         56
        .size:           4
        .value_kind:     by_value
      - .actual_access:  read_only
        .address_space:  global
        .offset:         64
        .size:           8
        .value_kind:     global_buffer
      - .actual_access:  read_only
        .address_space:  global
        .offset:         72
        .size:           8
        .value_kind:     global_buffer
      - .address_space:  global
        .offset:         80
        .size:           8
        .value_kind:     global_buffer
    .group_segment_fixed_size: 0
    .kernarg_segment_align: 8
    .kernarg_segment_size: 88
    .language:       OpenCL C
    .language_version:
      - 2
      - 0
    .max_flat_workgroup_size: 99
    .name:           fft_rtc_fwd_len693_factors_11_7_9_wgs_99_tpt_99_halfLds_half_ip_CI_sbrr_dirReg
    .private_segment_fixed_size: 0
    .sgpr_count:     31
    .sgpr_spill_count: 0
    .symbol:         fft_rtc_fwd_len693_factors_11_7_9_wgs_99_tpt_99_halfLds_half_ip_CI_sbrr_dirReg.kd
    .uniform_work_group_size: 1
    .uses_dynamic_stack: false
    .vgpr_count:     55
    .vgpr_spill_count: 0
    .wavefront_size: 64
amdhsa.target:   amdgcn-amd-amdhsa--gfx906
amdhsa.version:
  - 1
  - 2
...

	.end_amdgpu_metadata
